;; amdgpu-corpus repo=ROCm/rocFFT kind=compiled arch=gfx1030 opt=O3
	.text
	.amdgcn_target "amdgcn-amd-amdhsa--gfx1030"
	.amdhsa_code_object_version 6
	.protected	bluestein_single_fwd_len441_dim1_dp_op_CI_CI ; -- Begin function bluestein_single_fwd_len441_dim1_dp_op_CI_CI
	.globl	bluestein_single_fwd_len441_dim1_dp_op_CI_CI
	.p2align	8
	.type	bluestein_single_fwd_len441_dim1_dp_op_CI_CI,@function
bluestein_single_fwd_len441_dim1_dp_op_CI_CI: ; @bluestein_single_fwd_len441_dim1_dp_op_CI_CI
; %bb.0:
	s_load_dwordx4 s[0:3], s[4:5], 0x28
	v_mul_u32_u24_e32 v1, 0x411, v0
	v_mov_b32_e32 v85, 0
	v_lshrrev_b32_e32 v1, 16, v1
	v_add_nc_u32_e32 v84, s6, v1
	s_waitcnt lgkmcnt(0)
	v_cmp_gt_u64_e32 vcc_lo, s[0:1], v[84:85]
	s_and_saveexec_b32 s0, vcc_lo
	s_cbranch_execz .LBB0_15
; %bb.1:
	s_clause 0x1
	s_load_dwordx2 s[14:15], s[4:5], 0x0
	s_load_dwordx2 s[12:13], s[4:5], 0x38
	v_mul_lo_u16 v1, v1, 63
	v_sub_nc_u16 v0, v0, v1
	v_and_b32_e32 v86, 0xffff, v0
	v_cmp_gt_u16_e32 vcc_lo, 49, v0
	v_lshlrev_b32_e32 v85, 4, v86
	s_and_saveexec_b32 s1, vcc_lo
	s_cbranch_execz .LBB0_3
; %bb.2:
	s_load_dwordx2 s[6:7], s[4:5], 0x18
	s_waitcnt lgkmcnt(0)
	v_add_co_u32 v18, s0, s14, v85
	v_add_co_ci_u32_e64 v19, null, s15, 0, s0
	global_load_dwordx4 v[0:3], v85, s[14:15]
	v_add_co_u32 v20, s0, 0x800, v18
	v_add_co_ci_u32_e64 v21, s0, 0, v19, s0
	v_add_co_u32 v56, s0, 0x1000, v18
	v_add_co_ci_u32_e64 v57, s0, 0, v19, s0
	;; [unrolled: 2-line block ×3, first 2 shown]
	s_load_dwordx4 s[8:11], s[6:7], 0x0
	s_waitcnt lgkmcnt(0)
	v_mad_u64_u32 v[12:13], null, s10, v84, 0
	v_mad_u64_u32 v[14:15], null, s8, v86, 0
	s_mul_i32 s6, s9, 0x310
	s_mul_hi_u32 s7, s8, 0x310
	s_add_i32 s7, s7, s6
	v_mov_b32_e32 v4, v13
	v_mov_b32_e32 v13, v15
	v_mad_u64_u32 v[15:16], null, s11, v84, v[4:5]
	v_mad_u64_u32 v[16:17], null, s9, v86, v[13:14]
	s_clause 0x1
	global_load_dwordx4 v[4:7], v85, s[14:15] offset:784
	global_load_dwordx4 v[8:11], v85, s[14:15] offset:1568
	v_mov_b32_e32 v13, v15
	v_mov_b32_e32 v15, v16
	v_lshlrev_b64 v[12:13], 4, v[12:13]
	v_lshlrev_b64 v[14:15], 4, v[14:15]
	v_add_co_u32 v12, s0, s2, v12
	v_add_co_ci_u32_e64 v13, s0, s3, v13, s0
	s_mul_i32 s2, s8, 0x310
	v_add_co_u32 v24, s0, v12, v14
	v_add_co_ci_u32_e64 v25, s0, v13, v15, s0
	s_clause 0x1
	global_load_dwordx4 v[12:15], v[20:21], off offset:304
	global_load_dwordx4 v[16:19], v[20:21], off offset:1088
	v_add_co_u32 v28, s0, v24, s2
	v_add_co_ci_u32_e64 v29, s0, s7, v25, s0
	global_load_dwordx4 v[20:23], v[20:21], off offset:1872
	v_add_co_u32 v32, s0, v28, s2
	v_add_co_ci_u32_e64 v33, s0, s7, v29, s0
	s_clause 0x1
	global_load_dwordx4 v[24:27], v[24:25], off
	global_load_dwordx4 v[28:31], v[28:29], off
	v_add_co_u32 v36, s0, v32, s2
	v_add_co_ci_u32_e64 v37, s0, s7, v33, s0
	v_add_co_u32 v40, s0, v36, s2
	v_add_co_ci_u32_e64 v41, s0, s7, v37, s0
	s_clause 0x1
	global_load_dwordx4 v[32:35], v[32:33], off
	global_load_dwordx4 v[36:39], v[36:37], off
	v_add_co_u32 v44, s0, v40, s2
	v_add_co_ci_u32_e64 v45, s0, s7, v41, s0
	global_load_dwordx4 v[40:43], v[40:41], off
	v_add_co_u32 v48, s0, v44, s2
	v_add_co_ci_u32_e64 v49, s0, s7, v45, s0
	;; [unrolled: 3-line block ×4, first 2 shown]
	s_clause 0x1
	global_load_dwordx4 v[52:55], v[56:57], off offset:608
	global_load_dwordx4 v[56:59], v[56:57], off offset:1392
	global_load_dwordx4 v[60:63], v[60:61], off
	global_load_dwordx4 v[64:67], v[64:65], off offset:128
	global_load_dwordx4 v[68:71], v[68:69], off
	s_waitcnt vmcnt(11)
	v_mul_f64 v[72:73], v[26:27], v[2:3]
	v_mul_f64 v[2:3], v[24:25], v[2:3]
	s_waitcnt vmcnt(10)
	v_mul_f64 v[74:75], v[30:31], v[6:7]
	v_mul_f64 v[6:7], v[28:29], v[6:7]
	;; [unrolled: 3-line block ×6, first 2 shown]
	v_fma_f64 v[22:23], v[24:25], v[0:1], v[72:73]
	v_fma_f64 v[24:25], v[26:27], v[0:1], -v[2:3]
	v_fma_f64 v[0:1], v[28:29], v[4:5], v[74:75]
	v_fma_f64 v[2:3], v[30:31], v[4:5], -v[6:7]
	s_waitcnt vmcnt(4)
	v_mul_f64 v[89:90], v[50:51], v[54:55]
	v_mul_f64 v[54:55], v[48:49], v[54:55]
	s_waitcnt vmcnt(2)
	v_mul_f64 v[91:92], v[62:63], v[58:59]
	v_mul_f64 v[58:59], v[60:61], v[58:59]
	;; [unrolled: 3-line block ×3, first 2 shown]
	v_fma_f64 v[4:5], v[32:33], v[8:9], v[76:77]
	v_fma_f64 v[6:7], v[34:35], v[8:9], -v[10:11]
	v_fma_f64 v[8:9], v[36:37], v[12:13], v[78:79]
	v_fma_f64 v[10:11], v[38:39], v[12:13], -v[14:15]
	;; [unrolled: 2-line block ×7, first 2 shown]
	ds_write_b128 v85, v[22:25]
	ds_write_b128 v85, v[0:3] offset:784
	ds_write_b128 v85, v[4:7] offset:1568
	;; [unrolled: 1-line block ×8, first 2 shown]
.LBB0_3:
	s_or_b32 exec_lo, exec_lo, s1
	s_clause 0x1
	s_load_dwordx2 s[2:3], s[4:5], 0x20
	s_load_dwordx2 s[0:1], s[4:5], 0x8
	s_waitcnt lgkmcnt(0)
	s_barrier
	buffer_gl0_inv
                                        ; implicit-def: $vgpr0_vgpr1
                                        ; implicit-def: $vgpr24_vgpr25
                                        ; implicit-def: $vgpr16_vgpr17
                                        ; implicit-def: $vgpr12_vgpr13
                                        ; implicit-def: $vgpr4_vgpr5
                                        ; implicit-def: $vgpr8_vgpr9
                                        ; implicit-def: $vgpr20_vgpr21
                                        ; implicit-def: $vgpr28_vgpr29
                                        ; implicit-def: $vgpr32_vgpr33
	s_and_saveexec_b32 s4, vcc_lo
	s_cbranch_execz .LBB0_5
; %bb.4:
	ds_read_b128 v[0:3], v85
	ds_read_b128 v[24:27], v85 offset:784
	ds_read_b128 v[16:19], v85 offset:1568
	;; [unrolled: 1-line block ×8, first 2 shown]
.LBB0_5:
	s_or_b32 exec_lo, exec_lo, s4
	s_waitcnt lgkmcnt(0)
	v_add_f64 v[38:39], v[24:25], -v[32:33]
	v_add_f64 v[36:37], v[26:27], -v[34:35]
	v_add_f64 v[24:25], v[24:25], v[32:33]
	v_add_f64 v[26:27], v[26:27], v[34:35]
	v_add_f64 v[34:35], v[4:5], -v[8:9]
	v_add_f64 v[32:33], v[6:7], -v[10:11]
	v_add_f64 v[40:41], v[4:5], v[8:9]
	v_add_f64 v[42:43], v[6:7], v[10:11]
	s_mov_b32 s18, 0xa2cf5039
	s_mov_b32 s9, 0x3fe491b7
	;; [unrolled: 1-line block ×4, first 2 shown]
	v_add_f64 v[44:45], v[16:17], v[28:29]
	v_add_f64 v[58:59], v[18:19], v[30:31]
	v_add_f64 v[28:29], v[16:17], -v[28:29]
	v_add_f64 v[30:31], v[18:19], -v[30:31]
	s_mov_b32 s22, 0x8c811c17
	s_mov_b32 s20, 0x7e0b738b
	;; [unrolled: 1-line block ×4, first 2 shown]
	v_add_f64 v[46:47], v[12:13], v[20:21]
	v_add_f64 v[56:57], v[14:15], v[22:23]
	v_mul_f64 v[16:17], v[38:39], s[8:9]
	v_mul_f64 v[18:19], v[36:37], s[8:9]
	v_fma_f64 v[48:49], v[24:25], s[18:19], v[0:1]
	v_fma_f64 v[50:51], v[26:27], s[18:19], v[2:3]
	v_mul_f64 v[52:53], v[34:35], s[8:9]
	v_mul_f64 v[54:55], v[32:33], s[8:9]
	v_fma_f64 v[60:61], v[40:41], s[18:19], v[0:1]
	v_fma_f64 v[62:63], v[42:43], s[18:19], v[2:3]
	v_add_f64 v[20:21], v[12:13], -v[20:21]
	v_add_f64 v[22:23], v[14:15], -v[22:23]
	s_mov_b32 s4, 0xe8584cab
	s_mov_b32 s5, 0x3febb67a
	;; [unrolled: 1-line block ×8, first 2 shown]
	v_mul_lo_u16 v87, v86, 9
	s_barrier
	buffer_gl0_inv
	v_fma_f64 v[12:13], v[28:29], s[22:23], v[16:17]
	v_fma_f64 v[14:15], v[30:31], s[22:23], v[18:19]
	v_fma_f64 v[16:17], v[44:45], s[20:21], v[48:49]
	v_fma_f64 v[18:19], v[58:59], s[20:21], v[50:51]
	v_fma_f64 v[48:49], v[38:39], s[22:23], -v[52:53]
	v_fma_f64 v[50:51], v[36:37], s[22:23], -v[54:55]
	v_fma_f64 v[52:53], v[24:25], s[20:21], v[60:61]
	v_fma_f64 v[54:55], v[26:27], s[20:21], v[62:63]
	;; [unrolled: 1-line block ×4, first 2 shown]
	v_fma_f64 v[16:17], v[46:47], -0.5, v[16:17]
	v_fma_f64 v[18:19], v[56:57], -0.5, v[18:19]
	v_fma_f64 v[48:49], v[20:21], s[6:7], v[48:49]
	v_fma_f64 v[50:51], v[22:23], s[6:7], v[50:51]
	v_fma_f64 v[52:53], v[46:47], -0.5, v[52:53]
	v_fma_f64 v[54:55], v[56:57], -0.5, v[54:55]
	v_fma_f64 v[60:61], v[34:35], s[10:11], v[12:13]
	v_fma_f64 v[62:63], v[32:33], s[10:11], v[14:15]
	;; [unrolled: 1-line block ×8, first 2 shown]
	v_add_f64 v[16:17], v[62:63], v[12:13]
	v_add_f64 v[18:19], v[14:15], -v[60:61]
	v_add_f64 v[12:13], v[50:51], v[48:49]
	v_add_f64 v[14:15], v[52:53], -v[64:65]
	v_fma_f64 v[52:53], v[62:63], -2.0, v[16:17]
	v_fma_f64 v[54:55], v[60:61], 2.0, v[18:19]
	v_fma_f64 v[48:49], v[48:49], -2.0, v[12:13]
	v_fma_f64 v[50:51], v[64:65], 2.0, v[14:15]
	s_and_saveexec_b32 s24, vcc_lo
	s_cbranch_execz .LBB0_7
; %bb.6:
	v_mul_f64 v[60:61], v[34:35], s[22:23]
	v_fma_f64 v[62:63], v[58:59], s[18:19], v[2:3]
	v_mul_f64 v[64:65], v[32:33], s[22:23]
	v_fma_f64 v[66:67], v[44:45], s[18:19], v[0:1]
	v_add_f64 v[58:59], v[58:59], v[26:27]
	v_add_f64 v[44:45], v[44:45], v[24:25]
	s_mov_b32 s9, 0xbfe491b7
	v_mul_f64 v[20:21], v[20:21], s[4:5]
	v_mul_f64 v[22:23], v[22:23], s[4:5]
	v_mul_f64 v[68:69], v[46:47], 0.5
	v_mul_f64 v[70:71], v[56:57], 0.5
	v_add_f64 v[72:73], v[2:3], v[56:57]
	v_add_f64 v[74:75], v[0:1], v[46:47]
	v_add_f64 v[34:35], v[34:35], v[38:39]
	v_add_f64 v[32:33], v[32:33], v[36:37]
	v_fma_f64 v[60:61], v[28:29], s[8:9], -v[60:61]
	v_fma_f64 v[62:63], v[42:43], s[20:21], v[62:63]
	v_fma_f64 v[64:65], v[30:31], s[8:9], -v[64:65]
	v_fma_f64 v[66:67], v[40:41], s[20:21], v[66:67]
	v_add_f64 v[56:57], v[56:57], v[58:59]
	v_add_f64 v[46:47], v[46:47], v[44:45]
	;; [unrolled: 1-line block ×4, first 2 shown]
	v_add_f64 v[28:29], v[34:35], -v[28:29]
	v_add_f64 v[30:31], v[32:33], -v[30:31]
	v_add_f64 v[20:21], v[20:21], v[60:61]
	v_add_f64 v[44:45], v[62:63], -v[70:71]
	v_add_f64 v[22:23], v[22:23], v[64:65]
	;; [unrolled: 2-line block ×3, first 2 shown]
	v_add_f64 v[4:5], v[4:5], v[46:47]
	v_fma_f64 v[32:33], v[42:43], -0.5, v[72:73]
	v_fma_f64 v[34:35], v[40:41], -0.5, v[74:75]
	v_fma_f64 v[38:39], v[38:39], s[10:11], v[20:21]
	v_fma_f64 v[20:21], v[26:27], s[16:17], v[44:45]
	;; [unrolled: 1-line block ×4, first 2 shown]
	v_add_f64 v[40:41], v[10:11], v[6:7]
	v_add_f64 v[42:43], v[8:9], v[4:5]
	v_mul_f64 v[24:25], v[28:29], s[4:5]
	v_mul_f64 v[26:27], v[30:31], s[4:5]
	v_fma_f64 v[6:7], v[28:29], s[6:7], v[32:33]
	v_fma_f64 v[4:5], v[30:31], s[4:5], v[34:35]
	v_mov_b32_e32 v28, 4
	v_lshlrev_b32_sdwa v28, v28, v87 dst_sel:DWORD dst_unused:UNUSED_PAD src0_sel:DWORD src1_sel:WORD_0
	v_add_f64 v[10:11], v[20:21], -v[38:39]
	v_add_f64 v[8:9], v[36:37], v[22:23]
	v_add_f64 v[2:3], v[2:3], v[40:41]
	;; [unrolled: 1-line block ×3, first 2 shown]
	v_fma_f64 v[22:23], v[24:25], 2.0, v[6:7]
	v_fma_f64 v[20:21], v[26:27], -2.0, v[4:5]
	v_fma_f64 v[26:27], v[38:39], 2.0, v[10:11]
	v_fma_f64 v[24:25], v[36:37], -2.0, v[8:9]
	ds_write_b128 v28, v[16:19] offset:16
	ds_write_b128 v28, v[12:15] offset:32
	;; [unrolled: 1-line block ×4, first 2 shown]
	ds_write_b128 v28, v[0:3]
	ds_write_b128 v28, v[8:11] offset:64
	ds_write_b128 v28, v[20:23] offset:96
	;; [unrolled: 1-line block ×4, first 2 shown]
.LBB0_7:
	s_or_b32 exec_lo, exec_lo, s24
	v_and_b32_e32 v0, 0xff, v86
	s_load_dwordx4 s[4:7], s[2:3], 0x0
	s_waitcnt lgkmcnt(0)
	s_barrier
	buffer_gl0_inv
	v_mul_lo_u16 v0, v0, 57
	s_mov_b32 s8, 0x37e14327
	s_mov_b32 s18, 0xe976ee23
	;; [unrolled: 1-line block ×4, first 2 shown]
	v_lshrrev_b16 v80, 9, v0
	s_mov_b32 s10, 0x429ad128
	s_mov_b32 s2, 0x36b3c0b5
	;; [unrolled: 1-line block ×4, first 2 shown]
	v_mul_lo_u16 v0, v80, 9
	s_mov_b32 s16, 0xaaaaaaaa
	s_mov_b32 s24, 0xb247c609
	;; [unrolled: 1-line block ×4, first 2 shown]
	v_sub_nc_u16 v0, v86, v0
	s_mov_b32 s25, 0x3fd5d0dc
	s_mov_b32 s21, 0x3fe77f67
	;; [unrolled: 1-line block ×4, first 2 shown]
	v_and_b32_e32 v81, 0xff, v0
	s_mov_b32 s22, s20
	s_mov_b32 s26, s24
	;; [unrolled: 1-line block ×4, first 2 shown]
	v_mul_u32_u24_e32 v0, 6, v81
	v_mov_b32_e32 v82, 63
	v_lshlrev_b32_e32 v12, 4, v0
	s_clause 0x5
	global_load_dwordx4 v[4:7], v12, s[0:1]
	global_load_dwordx4 v[0:3], v12, s[0:1] offset:16
	global_load_dwordx4 v[8:11], v12, s[0:1] offset:80
	;; [unrolled: 1-line block ×5, first 2 shown]
	ds_read_b128 v[24:27], v85 offset:1008
	ds_read_b128 v[28:31], v85 offset:2016
	;; [unrolled: 1-line block ×6, first 2 shown]
	s_waitcnt vmcnt(5) lgkmcnt(5)
	v_mul_f64 v[56:57], v[26:27], v[6:7]
	v_mul_f64 v[58:59], v[24:25], v[6:7]
	s_waitcnt vmcnt(4) lgkmcnt(4)
	v_mul_f64 v[60:61], v[30:31], v[2:3]
	v_mul_f64 v[62:63], v[28:29], v[2:3]
	;; [unrolled: 3-line block ×6, first 2 shown]
	v_fma_f64 v[24:25], v[24:25], v[4:5], -v[56:57]
	v_fma_f64 v[26:27], v[26:27], v[4:5], v[58:59]
	v_fma_f64 v[28:29], v[28:29], v[0:1], -v[60:61]
	v_fma_f64 v[30:31], v[30:31], v[0:1], v[62:63]
	;; [unrolled: 2-line block ×6, first 2 shown]
	v_add_f64 v[56:57], v[24:25], v[32:33]
	v_add_f64 v[58:59], v[26:27], v[34:35]
	;; [unrolled: 1-line block ×4, first 2 shown]
	v_add_f64 v[28:29], v[28:29], -v[36:37]
	v_add_f64 v[30:31], v[30:31], -v[38:39]
	v_add_f64 v[36:37], v[40:41], v[44:45]
	v_add_f64 v[38:39], v[42:43], v[46:47]
	v_add_f64 v[40:41], v[44:45], -v[40:41]
	v_add_f64 v[42:43], v[46:47], -v[42:43]
	;; [unrolled: 1-line block ×4, first 2 shown]
	ds_read_b128 v[24:27], v85
	s_waitcnt lgkmcnt(0)
	s_barrier
	buffer_gl0_inv
	v_add_f64 v[44:45], v[60:61], v[56:57]
	v_add_f64 v[46:47], v[62:63], v[58:59]
	v_add_f64 v[64:65], v[56:57], -v[36:37]
	v_add_f64 v[66:67], v[58:59], -v[38:39]
	;; [unrolled: 1-line block ×6, first 2 shown]
	v_add_f64 v[28:29], v[40:41], v[28:29]
	v_add_f64 v[30:31], v[42:43], v[30:31]
	v_add_f64 v[40:41], v[32:33], -v[40:41]
	v_add_f64 v[42:43], v[34:35], -v[42:43]
	;; [unrolled: 1-line block ×4, first 2 shown]
	v_add_f64 v[44:45], v[36:37], v[44:45]
	v_add_f64 v[46:47], v[38:39], v[46:47]
	v_add_f64 v[36:37], v[36:37], -v[60:61]
	v_add_f64 v[38:39], v[38:39], -v[62:63]
	v_mul_f64 v[64:65], v[64:65], s[8:9]
	v_mul_f64 v[66:67], v[66:67], s[8:9]
	;; [unrolled: 1-line block ×6, first 2 shown]
	v_add_f64 v[28:29], v[28:29], v[32:33]
	v_add_f64 v[30:31], v[30:31], v[34:35]
	;; [unrolled: 1-line block ×4, first 2 shown]
	v_mul_f64 v[60:61], v[36:37], s[2:3]
	v_mul_f64 v[62:63], v[38:39], s[2:3]
	v_fma_f64 v[32:33], v[36:37], s[2:3], v[64:65]
	v_fma_f64 v[34:35], v[38:39], s[2:3], v[66:67]
	;; [unrolled: 1-line block ×4, first 2 shown]
	v_fma_f64 v[40:41], v[40:41], s[26:27], -v[76:77]
	v_fma_f64 v[42:43], v[42:43], s[26:27], -v[78:79]
	;; [unrolled: 1-line block ×6, first 2 shown]
	v_fma_f64 v[44:45], v[44:45], s[16:17], v[24:25]
	v_fma_f64 v[46:47], v[46:47], s[16:17], v[26:27]
	v_fma_f64 v[56:57], v[56:57], s[20:21], -v[60:61]
	v_fma_f64 v[58:59], v[58:59], s[20:21], -v[62:63]
	v_fma_f64 v[60:61], v[28:29], s[28:29], v[36:37]
	v_fma_f64 v[62:63], v[30:31], s[28:29], v[38:39]
	;; [unrolled: 1-line block ×6, first 2 shown]
	v_add_f64 v[76:77], v[32:33], v[44:45]
	v_add_f64 v[78:79], v[34:35], v[46:47]
	;; [unrolled: 1-line block ×7, first 2 shown]
	v_add_f64 v[30:31], v[78:79], -v[60:61]
	v_add_f64 v[32:33], v[74:75], v[64:65]
	v_add_f64 v[34:35], v[66:67], -v[72:73]
	v_add_f64 v[36:37], v[40:41], -v[70:71]
	v_add_f64 v[38:39], v[68:69], v[42:43]
	v_add_f64 v[40:41], v[70:71], v[40:41]
	v_add_f64 v[42:43], v[42:43], -v[68:69]
	v_add_f64 v[44:45], v[64:65], -v[74:75]
	v_add_f64 v[46:47], v[72:73], v[66:67]
	v_add_f64 v[56:57], v[76:77], -v[62:63]
	v_add_f64 v[58:59], v[60:61], v[78:79]
	v_mul_u32_u24_sdwa v60, v80, v82 dst_sel:DWORD dst_unused:UNUSED_PAD src0_sel:WORD_0 src1_sel:DWORD
	v_add_lshl_u32 v88, v60, v81, 4
	v_mad_u64_u32 v[60:61], null, 0x60, v86, s[0:1]
	ds_write_b128 v88, v[24:27]
	ds_write_b128 v88, v[28:31] offset:144
	ds_write_b128 v88, v[32:35] offset:288
	;; [unrolled: 1-line block ×6, first 2 shown]
	s_waitcnt lgkmcnt(0)
	s_barrier
	buffer_gl0_inv
	s_clause 0x5
	global_load_dwordx4 v[28:31], v[60:61], off offset:864
	global_load_dwordx4 v[24:27], v[60:61], off offset:880
	;; [unrolled: 1-line block ×6, first 2 shown]
	ds_read_b128 v[56:59], v85 offset:1008
	ds_read_b128 v[60:63], v85 offset:2016
	;; [unrolled: 1-line block ×6, first 2 shown]
	s_waitcnt vmcnt(5) lgkmcnt(5)
	v_mul_f64 v[80:81], v[58:59], v[30:31]
	v_mul_f64 v[82:83], v[56:57], v[30:31]
	s_waitcnt vmcnt(4) lgkmcnt(4)
	v_mul_f64 v[89:90], v[62:63], v[26:27]
	v_mul_f64 v[91:92], v[60:61], v[26:27]
	;; [unrolled: 3-line block ×6, first 2 shown]
	v_fma_f64 v[56:57], v[56:57], v[28:29], -v[80:81]
	v_fma_f64 v[58:59], v[58:59], v[28:29], v[82:83]
	v_fma_f64 v[60:61], v[60:61], v[24:25], -v[89:90]
	v_fma_f64 v[62:63], v[62:63], v[24:25], v[91:92]
	;; [unrolled: 2-line block ×6, first 2 shown]
	v_add_f64 v[80:81], v[56:57], v[64:65]
	v_add_f64 v[82:83], v[58:59], v[66:67]
	v_add_f64 v[89:90], v[60:61], v[68:69]
	v_add_f64 v[91:92], v[62:63], v[70:71]
	v_add_f64 v[60:61], v[60:61], -v[68:69]
	v_add_f64 v[62:63], v[62:63], -v[70:71]
	v_add_f64 v[68:69], v[72:73], v[76:77]
	v_add_f64 v[70:71], v[74:75], v[78:79]
	v_add_f64 v[72:73], v[76:77], -v[72:73]
	v_add_f64 v[74:75], v[78:79], -v[74:75]
	;; [unrolled: 1-line block ×4, first 2 shown]
	v_add_f64 v[56:57], v[89:90], v[80:81]
	v_add_f64 v[58:59], v[91:92], v[82:83]
	v_add_f64 v[76:77], v[80:81], -v[68:69]
	v_add_f64 v[78:79], v[82:83], -v[70:71]
	;; [unrolled: 1-line block ×6, first 2 shown]
	v_add_f64 v[60:61], v[72:73], v[60:61]
	v_add_f64 v[62:63], v[74:75], v[62:63]
	v_add_f64 v[72:73], v[64:65], -v[72:73]
	v_add_f64 v[74:75], v[66:67], -v[74:75]
	v_add_f64 v[80:81], v[89:90], -v[80:81]
	v_add_f64 v[82:83], v[91:92], -v[82:83]
	v_add_f64 v[101:102], v[68:69], v[56:57]
	v_add_f64 v[103:104], v[70:71], v[58:59]
	v_add_f64 v[68:69], v[68:69], -v[89:90]
	v_add_f64 v[70:71], v[70:71], -v[91:92]
	ds_read_b128 v[56:59], v85
	v_mul_f64 v[76:77], v[76:77], s[8:9]
	v_mul_f64 v[78:79], v[78:79], s[8:9]
	;; [unrolled: 1-line block ×6, first 2 shown]
	v_add_f64 v[60:61], v[60:61], v[64:65]
	v_add_f64 v[62:63], v[62:63], v[66:67]
	s_waitcnt lgkmcnt(0)
	v_add_f64 v[56:57], v[56:57], v[101:102]
	v_add_f64 v[58:59], v[58:59], v[103:104]
	v_mul_f64 v[89:90], v[68:69], s[2:3]
	v_mul_f64 v[91:92], v[70:71], s[2:3]
	v_fma_f64 v[64:65], v[68:69], s[2:3], v[76:77]
	v_fma_f64 v[66:67], v[70:71], s[2:3], v[78:79]
	;; [unrolled: 1-line block ×4, first 2 shown]
	v_fma_f64 v[93:94], v[97:98], s[10:11], -v[93:94]
	v_fma_f64 v[95:96], v[99:100], s[10:11], -v[95:96]
	;; [unrolled: 1-line block ×6, first 2 shown]
	v_fma_f64 v[97:98], v[101:102], s[16:17], v[56:57]
	v_fma_f64 v[99:100], v[103:104], s[16:17], v[58:59]
	v_fma_f64 v[80:81], v[80:81], s[20:21], -v[89:90]
	v_fma_f64 v[82:83], v[82:83], s[20:21], -v[91:92]
	v_fma_f64 v[89:90], v[60:61], s[28:29], v[68:69]
	v_fma_f64 v[91:92], v[62:63], s[28:29], v[70:71]
	v_fma_f64 v[93:94], v[60:61], s[28:29], v[93:94]
	v_fma_f64 v[95:96], v[62:63], s[28:29], v[95:96]
	v_fma_f64 v[72:73], v[60:61], s[28:29], v[72:73]
	v_fma_f64 v[60:61], v[62:63], s[28:29], v[74:75]
	v_add_f64 v[74:75], v[64:65], v[97:98]
	v_add_f64 v[101:102], v[66:67], v[99:100]
	;; [unrolled: 1-line block ×7, first 2 shown]
	v_add_f64 v[78:79], v[101:102], -v[89:90]
	v_add_f64 v[80:81], v[60:61], v[62:63]
	v_add_f64 v[82:83], v[103:104], -v[72:73]
	v_add_f64 v[68:69], v[64:65], -v[95:96]
	v_add_f64 v[70:71], v[93:94], v[66:67]
	v_add_f64 v[64:65], v[95:96], v[64:65]
	v_add_f64 v[66:67], v[66:67], -v[93:94]
	v_add_f64 v[60:61], v[62:63], -v[60:61]
	v_add_f64 v[62:63], v[72:73], v[103:104]
	v_add_f64 v[72:73], v[74:75], -v[91:92]
	v_add_f64 v[74:75], v[89:90], v[101:102]
	ds_write_b128 v85, v[56:59]
	ds_write_b128 v85, v[76:79] offset:1008
	ds_write_b128 v85, v[80:83] offset:2016
	;; [unrolled: 1-line block ×6, first 2 shown]
	s_waitcnt lgkmcnt(0)
	s_barrier
	buffer_gl0_inv
	s_and_saveexec_b32 s1, vcc_lo
	s_cbranch_execz .LBB0_9
; %bb.8:
	v_add_co_u32 v109, s0, s14, v85
	v_add_co_ci_u32_e64 v110, null, s15, 0, s0
	v_add_co_u32 v97, s0, 0x1800, v109
	v_add_co_ci_u32_e64 v98, s0, 0, v110, s0
	v_add_co_u32 v93, s0, 0x1b90, v109
	v_add_co_ci_u32_e64 v94, s0, 0, v110, s0
	;; [unrolled: 2-line block ×3, first 2 shown]
	v_add_co_u32 v113, s0, 0x2800, v109
	s_clause 0x4
	global_load_dwordx4 v[89:92], v[93:94], off offset:784
	global_load_dwordx4 v[93:96], v[93:94], off offset:1568
	global_load_dwordx4 v[97:100], v[97:98], off offset:912
	global_load_dwordx4 v[101:104], v[105:106], off offset:1216
	global_load_dwordx4 v[105:108], v[105:106], off offset:2000
	v_add_co_ci_u32_e64 v114, s0, 0, v110, s0
	v_add_co_u32 v121, s0, 0x3000, v109
	v_add_co_ci_u32_e64 v122, s0, 0, v110, s0
	s_clause 0x3
	global_load_dwordx4 v[109:112], v[113:114], off offset:736
	global_load_dwordx4 v[113:116], v[113:114], off offset:1520
	;; [unrolled: 1-line block ×4, first 2 shown]
	ds_read_b128 v[125:128], v85
	ds_read_b128 v[129:132], v85 offset:784
	ds_read_b128 v[133:136], v85 offset:1568
	;; [unrolled: 1-line block ×8, first 2 shown]
	s_waitcnt vmcnt(8) lgkmcnt(7)
	v_mul_f64 v[163:164], v[131:132], v[91:92]
	v_mul_f64 v[91:92], v[129:130], v[91:92]
	s_waitcnt vmcnt(6)
	v_mul_f64 v[161:162], v[127:128], v[99:100]
	v_mul_f64 v[99:100], v[125:126], v[99:100]
	s_waitcnt lgkmcnt(6)
	v_mul_f64 v[165:166], v[135:136], v[95:96]
	v_mul_f64 v[167:168], v[133:134], v[95:96]
	s_waitcnt vmcnt(5) lgkmcnt(5)
	v_mul_f64 v[169:170], v[139:140], v[103:104]
	v_mul_f64 v[103:104], v[137:138], v[103:104]
	s_waitcnt vmcnt(4) lgkmcnt(4)
	;; [unrolled: 3-line block ×6, first 2 shown]
	v_mul_f64 v[179:180], v[159:160], v[123:124]
	v_mul_f64 v[181:182], v[157:158], v[123:124]
	v_fma_f64 v[123:124], v[129:130], v[89:90], -v[163:164]
	v_fma_f64 v[95:96], v[125:126], v[97:98], -v[161:162]
	v_fma_f64 v[97:98], v[127:128], v[97:98], v[99:100]
	v_fma_f64 v[125:126], v[131:132], v[89:90], v[91:92]
	v_fma_f64 v[89:90], v[133:134], v[93:94], -v[165:166]
	v_fma_f64 v[91:92], v[135:136], v[93:94], v[167:168]
	v_fma_f64 v[99:100], v[137:138], v[101:102], -v[169:170]
	;; [unrolled: 2-line block ×7, first 2 shown]
	v_fma_f64 v[121:122], v[159:160], v[121:122], v[181:182]
	ds_write_b128 v85, v[95:98]
	ds_write_b128 v85, v[123:126] offset:784
	ds_write_b128 v85, v[89:92] offset:1568
	;; [unrolled: 1-line block ×8, first 2 shown]
.LBB0_9:
	s_or_b32 exec_lo, exec_lo, s1
	s_waitcnt lgkmcnt(0)
	s_barrier
	buffer_gl0_inv
	s_and_saveexec_b32 s0, vcc_lo
	s_cbranch_execz .LBB0_11
; %bb.10:
	ds_read_b128 v[56:59], v85
	ds_read_b128 v[76:79], v85 offset:784
	ds_read_b128 v[80:83], v85 offset:1568
	;; [unrolled: 1-line block ×8, first 2 shown]
.LBB0_11:
	s_or_b32 exec_lo, exec_lo, s0
	s_waitcnt lgkmcnt(0)
	s_barrier
	buffer_gl0_inv
	s_and_saveexec_b32 s8, vcc_lo
	s_cbranch_execz .LBB0_13
; %bb.12:
	v_add_f64 v[89:90], v[64:65], -v[60:61]
	v_add_f64 v[91:92], v[66:67], -v[62:63]
	s_mov_b32 s0, 0x8c811c17
	s_mov_b32 s1, 0x3fef838b
	v_add_f64 v[93:94], v[80:81], -v[48:49]
	v_add_f64 v[95:96], v[82:83], v[50:51]
	v_add_f64 v[48:49], v[80:81], v[48:49]
	v_add_f64 v[50:51], v[82:83], -v[50:51]
	v_add_f64 v[80:81], v[66:67], v[62:63]
	v_add_f64 v[97:98], v[64:65], v[60:61]
	;; [unrolled: 1-line block ×4, first 2 shown]
	v_add_f64 v[52:53], v[76:77], -v[52:53]
	v_add_f64 v[54:55], v[78:79], -v[54:55]
	s_mov_b32 s10, 0xa2cf5039
	s_mov_b32 s11, 0x3fe8836f
	;; [unrolled: 1-line block ×4, first 2 shown]
	v_add_f64 v[121:122], v[68:69], -v[72:73]
	v_add_f64 v[123:124], v[70:71], v[74:75]
	v_add_f64 v[68:69], v[68:69], v[72:73]
	v_add_f64 v[70:71], v[70:71], -v[74:75]
	v_mul_f64 v[82:83], v[89:90], s[0:1]
	v_mul_f64 v[101:102], v[91:92], s[0:1]
	;; [unrolled: 1-line block ×4, first 2 shown]
	s_mov_b32 s16, 0x42522d1b
	v_fma_f64 v[76:77], v[95:96], s[10:11], v[58:59]
	v_fma_f64 v[78:79], v[48:49], s[10:11], v[56:57]
	s_mov_b32 s17, 0xbfee11f6
	v_fma_f64 v[107:108], v[80:81], s[10:11], v[58:59]
	v_fma_f64 v[109:110], v[97:98], s[10:11], v[56:57]
	;; [unrolled: 1-line block ×4, first 2 shown]
	v_add_f64 v[72:73], v[95:96], v[99:100]
	v_add_f64 v[125:126], v[48:49], v[103:104]
	s_mov_b32 s10, 0xe8584cab
	s_mov_b32 s11, 0x3febb67a
	v_add_f64 v[131:132], v[91:92], v[54:55]
	v_add_f64 v[127:128], v[58:59], v[123:124]
	;; [unrolled: 1-line block ×3, first 2 shown]
	v_fma_f64 v[82:83], v[93:94], s[2:3], -v[82:83]
	v_fma_f64 v[101:102], v[50:51], s[2:3], -v[101:102]
	s_mov_b32 s3, 0x3fe491b7
	v_mul_f64 v[117:118], v[52:53], s[2:3]
	v_mul_f64 v[119:120], v[54:55], s[2:3]
	s_mov_b32 s2, 0x7e0b738b
	s_mov_b32 s3, 0x3fc63a1a
	v_fma_f64 v[76:77], v[80:81], s[2:3], v[76:77]
	v_fma_f64 v[74:75], v[97:98], s[2:3], v[78:79]
	;; [unrolled: 1-line block ×8, first 2 shown]
	v_add_f64 v[133:134], v[123:124], v[72:73]
	v_add_f64 v[135:136], v[68:69], v[125:126]
	;; [unrolled: 1-line block ×4, first 2 shown]
	s_mov_b32 s2, 0x748a0bf8
	v_fma_f64 v[82:83], v[121:122], s[10:11], v[82:83]
	v_fma_f64 v[101:102], v[70:71], s[10:11], v[101:102]
	s_mov_b32 s3, 0x3fd5e3a8
	v_fma_f64 v[115:116], v[93:94], s[0:1], v[117:118]
	v_fma_f64 v[117:118], v[50:51], s[0:1], v[119:120]
	s_mov_b32 s1, 0xbfebb67a
	s_mov_b32 s0, s10
	v_add_f64 v[119:120], v[89:90], v[52:53]
	v_fma_f64 v[76:77], v[123:124], -0.5, v[76:77]
	v_fma_f64 v[74:75], v[68:69], -0.5, v[74:75]
	v_fma_f64 v[78:79], v[121:122], s[0:1], v[78:79]
	v_fma_f64 v[105:106], v[123:124], -0.5, v[105:106]
	v_fma_f64 v[107:108], v[68:69], -0.5, v[107:108]
	v_fma_f64 v[109:110], v[70:71], s[0:1], v[109:110]
	v_fma_f64 v[111:112], v[123:124], -0.5, v[111:112]
	v_fma_f64 v[68:69], v[68:69], -0.5, v[113:114]
	v_add_f64 v[66:67], v[66:67], v[133:134]
	v_add_f64 v[64:65], v[64:65], v[135:136]
	v_fma_f64 v[72:73], v[72:73], -0.5, v[127:128]
	v_fma_f64 v[82:83], v[52:53], s[2:3], v[82:83]
	v_fma_f64 v[113:114], v[121:122], s[10:11], v[115:116]
	;; [unrolled: 1-line block ×3, first 2 shown]
	v_add_f64 v[117:118], v[131:132], -v[50:51]
	v_add_f64 v[115:116], v[119:120], -v[93:94]
	v_fma_f64 v[52:53], v[99:100], s[16:17], v[76:77]
	v_fma_f64 v[76:77], v[54:55], s[2:3], v[101:102]
	;; [unrolled: 1-line block ×3, first 2 shown]
	v_fma_f64 v[119:120], v[125:126], -0.5, v[129:130]
	v_fma_f64 v[78:79], v[93:94], s[2:3], v[78:79]
	v_fma_f64 v[93:94], v[95:96], s[16:17], v[105:106]
	;; [unrolled: 1-line block ×6, first 2 shown]
	v_add_f64 v[101:102], v[62:63], v[66:67]
	v_add_f64 v[103:104], v[60:61], v[64:65]
	v_fma_f64 v[89:90], v[89:90], s[2:3], v[113:114]
	v_fma_f64 v[91:92], v[91:92], s[2:3], v[70:71]
	v_mul_f64 v[97:98], v[117:118], s[10:11]
	v_mul_f64 v[70:71], v[115:116], s[10:11]
	v_add_f64 v[54:55], v[82:83], v[52:53]
	v_fma_f64 v[50:51], v[115:116], s[10:11], v[72:73]
	v_add_f64 v[52:53], v[74:75], -v[76:77]
	v_fma_f64 v[48:49], v[117:118], s[0:1], v[119:120]
	v_add_f64 v[62:63], v[78:79], v[93:94]
	v_add_f64 v[60:61], v[95:96], -v[99:100]
	v_add_f64 v[58:59], v[58:59], v[101:102]
	v_add_f64 v[56:57], v[56:57], v[103:104]
	;; [unrolled: 1-line block ×3, first 2 shown]
	v_add_f64 v[64:65], v[68:69], -v[91:92]
	v_fma_f64 v[74:75], v[82:83], -2.0, v[54:55]
	v_fma_f64 v[70:71], v[70:71], -2.0, v[50:51]
	v_fma_f64 v[72:73], v[76:77], 2.0, v[52:53]
	v_fma_f64 v[68:69], v[97:98], 2.0, v[48:49]
	v_fma_f64 v[78:79], v[78:79], -2.0, v[62:63]
	v_fma_f64 v[76:77], v[99:100], 2.0, v[60:61]
	v_fma_f64 v[82:83], v[89:90], -2.0, v[66:67]
	v_fma_f64 v[80:81], v[91:92], 2.0, v[64:65]
	v_mov_b32_e32 v89, 4
	v_lshlrev_b32_sdwa v87, v89, v87 dst_sel:DWORD dst_unused:UNUSED_PAD src0_sel:DWORD src1_sel:WORD_0
	ds_write_b128 v87, v[56:59]
	ds_write_b128 v87, v[64:67] offset:16
	ds_write_b128 v87, v[60:63] offset:32
	;; [unrolled: 1-line block ×8, first 2 shown]
.LBB0_13:
	s_or_b32 exec_lo, exec_lo, s8
	s_waitcnt lgkmcnt(0)
	s_barrier
	buffer_gl0_inv
	ds_read_b128 v[48:51], v85 offset:1008
	ds_read_b128 v[52:55], v85 offset:2016
	;; [unrolled: 1-line block ×6, first 2 shown]
	s_mov_b32 s2, 0x37e14327
	s_mov_b32 s16, 0xe976ee23
	;; [unrolled: 1-line block ×14, first 2 shown]
	s_waitcnt lgkmcnt(5)
	v_mul_f64 v[72:73], v[6:7], v[50:51]
	v_mul_f64 v[6:7], v[6:7], v[48:49]
	s_waitcnt lgkmcnt(4)
	v_mul_f64 v[74:75], v[2:3], v[54:55]
	v_mul_f64 v[2:3], v[2:3], v[52:53]
	;; [unrolled: 3-line block ×6, first 2 shown]
	s_mov_b32 s21, 0xbfe77f67
	s_mov_b32 s25, 0x3fd5d0dc
	;; [unrolled: 1-line block ×6, first 2 shown]
	v_fma_f64 v[48:49], v[4:5], v[48:49], v[72:73]
	v_fma_f64 v[4:5], v[4:5], v[50:51], -v[6:7]
	v_fma_f64 v[6:7], v[0:1], v[52:53], v[74:75]
	v_fma_f64 v[0:1], v[0:1], v[54:55], -v[2:3]
	;; [unrolled: 2-line block ×6, first 2 shown]
	v_add_f64 v[14:15], v[48:49], v[2:3]
	v_add_f64 v[50:51], v[4:5], v[8:9]
	;; [unrolled: 1-line block ×4, first 2 shown]
	v_add_f64 v[6:7], v[6:7], -v[10:11]
	v_add_f64 v[10:11], v[0:1], -v[20:21]
	v_add_f64 v[20:21], v[22:23], v[18:19]
	v_add_f64 v[56:57], v[16:17], v[12:13]
	v_add_f64 v[18:19], v[18:19], -v[22:23]
	v_add_f64 v[12:13], v[12:13], -v[16:17]
	v_add_f64 v[4:5], v[4:5], -v[8:9]
	v_add_f64 v[16:17], v[48:49], -v[2:3]
	ds_read_b128 v[0:3], v85
	s_waitcnt lgkmcnt(0)
	s_barrier
	buffer_gl0_inv
	v_add_f64 v[8:9], v[52:53], v[14:15]
	v_add_f64 v[22:23], v[54:55], v[50:51]
	v_add_f64 v[48:49], v[14:15], -v[20:21]
	v_add_f64 v[58:59], v[50:51], -v[56:57]
	;; [unrolled: 1-line block ×6, first 2 shown]
	v_add_f64 v[6:7], v[18:19], v[6:7]
	v_add_f64 v[10:11], v[12:13], v[10:11]
	v_add_f64 v[18:19], v[16:17], -v[18:19]
	v_add_f64 v[12:13], v[4:5], -v[12:13]
	;; [unrolled: 1-line block ×4, first 2 shown]
	v_add_f64 v[8:9], v[20:21], v[8:9]
	v_add_f64 v[22:23], v[56:57], v[22:23]
	v_add_f64 v[20:21], v[20:21], -v[52:53]
	v_add_f64 v[56:57], v[56:57], -v[54:55]
	v_mul_f64 v[48:49], v[48:49], s[2:3]
	v_mul_f64 v[58:59], v[58:59], s[2:3]
	;; [unrolled: 1-line block ×6, first 2 shown]
	v_add_f64 v[6:7], v[6:7], v[16:17]
	v_add_f64 v[4:5], v[10:11], v[4:5]
	;; [unrolled: 1-line block ×4, first 2 shown]
	v_mul_f64 v[52:53], v[20:21], s[0:1]
	v_mul_f64 v[54:55], v[56:57], s[0:1]
	v_fma_f64 v[10:11], v[20:21], s[0:1], v[48:49]
	v_fma_f64 v[16:17], v[56:57], s[0:1], v[58:59]
	;; [unrolled: 1-line block ×4, first 2 shown]
	v_fma_f64 v[60:61], v[64:65], s[8:9], -v[60:61]
	v_fma_f64 v[62:63], v[66:67], s[8:9], -v[62:63]
	v_fma_f64 v[18:19], v[18:19], s[24:25], -v[68:69]
	v_fma_f64 v[12:13], v[12:13], s[24:25], -v[70:71]
	v_fma_f64 v[48:49], v[14:15], s[20:21], -v[48:49]
	v_fma_f64 v[58:59], v[50:51], s[20:21], -v[58:59]
	v_fma_f64 v[8:9], v[8:9], s[10:11], v[0:1]
	v_fma_f64 v[22:23], v[22:23], s[10:11], v[2:3]
	v_fma_f64 v[14:15], v[14:15], s[18:19], -v[52:53]
	v_fma_f64 v[50:51], v[50:51], s[18:19], -v[54:55]
	v_fma_f64 v[52:53], v[6:7], s[26:27], v[20:21]
	v_fma_f64 v[54:55], v[4:5], s[26:27], v[56:57]
	;; [unrolled: 1-line block ×6, first 2 shown]
	v_add_f64 v[64:65], v[10:11], v[8:9]
	v_add_f64 v[66:67], v[16:17], v[22:23]
	;; [unrolled: 1-line block ×7, first 2 shown]
	v_add_f64 v[6:7], v[66:67], -v[52:53]
	v_add_f64 v[8:9], v[62:63], v[48:49]
	v_add_f64 v[10:11], v[58:59], -v[60:61]
	v_add_f64 v[12:13], v[16:17], -v[56:57]
	v_add_f64 v[14:15], v[20:21], v[18:19]
	v_add_f64 v[16:17], v[56:57], v[16:17]
	v_add_f64 v[18:19], v[18:19], -v[20:21]
	v_add_f64 v[20:21], v[48:49], -v[62:63]
	v_add_f64 v[22:23], v[60:61], v[58:59]
	v_add_f64 v[48:49], v[64:65], -v[54:55]
	v_add_f64 v[50:51], v[52:53], v[66:67]
	ds_write_b128 v88, v[0:3]
	ds_write_b128 v88, v[4:7] offset:144
	ds_write_b128 v88, v[8:11] offset:288
	;; [unrolled: 1-line block ×6, first 2 shown]
	s_waitcnt lgkmcnt(0)
	s_barrier
	buffer_gl0_inv
	ds_read_b128 v[0:3], v85 offset:1008
	ds_read_b128 v[4:7], v85 offset:2016
	;; [unrolled: 1-line block ×6, first 2 shown]
	s_waitcnt lgkmcnt(5)
	v_mul_f64 v[48:49], v[30:31], v[2:3]
	v_mul_f64 v[30:31], v[30:31], v[0:1]
	s_waitcnt lgkmcnt(4)
	v_mul_f64 v[50:51], v[26:27], v[6:7]
	v_mul_f64 v[26:27], v[26:27], v[4:5]
	;; [unrolled: 3-line block ×6, first 2 shown]
	v_fma_f64 v[0:1], v[28:29], v[0:1], v[48:49]
	v_fma_f64 v[2:3], v[28:29], v[2:3], -v[30:31]
	v_fma_f64 v[4:5], v[24:25], v[4:5], v[50:51]
	v_fma_f64 v[6:7], v[24:25], v[6:7], -v[26:27]
	;; [unrolled: 2-line block ×6, first 2 shown]
	v_add_f64 v[24:25], v[0:1], v[8:9]
	v_add_f64 v[26:27], v[2:3], v[10:11]
	;; [unrolled: 1-line block ×4, first 2 shown]
	v_add_f64 v[4:5], v[4:5], -v[12:13]
	v_add_f64 v[6:7], v[6:7], -v[14:15]
	v_add_f64 v[12:13], v[16:17], v[20:21]
	v_add_f64 v[14:15], v[18:19], v[22:23]
	v_add_f64 v[16:17], v[20:21], -v[16:17]
	v_add_f64 v[18:19], v[22:23], -v[18:19]
	;; [unrolled: 1-line block ×4, first 2 shown]
	v_add_f64 v[0:1], v[28:29], v[24:25]
	v_add_f64 v[2:3], v[30:31], v[26:27]
	v_add_f64 v[20:21], v[24:25], -v[12:13]
	v_add_f64 v[22:23], v[26:27], -v[14:15]
	;; [unrolled: 1-line block ×6, first 2 shown]
	v_add_f64 v[4:5], v[16:17], v[4:5]
	v_add_f64 v[6:7], v[18:19], v[6:7]
	v_add_f64 v[16:17], v[8:9], -v[16:17]
	v_add_f64 v[18:19], v[10:11], -v[18:19]
	;; [unrolled: 1-line block ×4, first 2 shown]
	v_add_f64 v[40:41], v[12:13], v[0:1]
	v_add_f64 v[42:43], v[14:15], v[2:3]
	ds_read_b128 v[0:3], v85
	v_add_f64 v[12:13], v[12:13], -v[28:29]
	v_add_f64 v[14:15], v[14:15], -v[30:31]
	v_mul_f64 v[20:21], v[20:21], s[2:3]
	v_mul_f64 v[22:23], v[22:23], s[2:3]
	;; [unrolled: 1-line block ×6, first 2 shown]
	v_add_f64 v[4:5], v[4:5], v[8:9]
	v_add_f64 v[6:7], v[6:7], v[10:11]
	s_waitcnt lgkmcnt(0)
	v_add_f64 v[0:1], v[0:1], v[40:41]
	v_add_f64 v[2:3], v[2:3], v[42:43]
	v_mul_f64 v[28:29], v[12:13], s[0:1]
	v_mul_f64 v[30:31], v[14:15], s[0:1]
	v_fma_f64 v[8:9], v[12:13], s[0:1], v[20:21]
	v_fma_f64 v[10:11], v[14:15], s[0:1], v[22:23]
	v_fma_f64 v[12:13], v[16:17], s[22:23], v[32:33]
	v_fma_f64 v[14:15], v[18:19], s[22:23], v[34:35]
	v_fma_f64 v[32:33], v[36:37], s[8:9], -v[32:33]
	v_fma_f64 v[34:35], v[38:39], s[8:9], -v[34:35]
	;; [unrolled: 1-line block ×6, first 2 shown]
	v_fma_f64 v[36:37], v[40:41], s[10:11], v[0:1]
	v_fma_f64 v[38:39], v[42:43], s[10:11], v[2:3]
	v_fma_f64 v[24:25], v[24:25], s[18:19], -v[28:29]
	v_fma_f64 v[26:27], v[26:27], s[18:19], -v[30:31]
	v_fma_f64 v[28:29], v[4:5], s[26:27], v[12:13]
	v_fma_f64 v[30:31], v[6:7], s[26:27], v[14:15]
	;; [unrolled: 1-line block ×6, first 2 shown]
	v_add_f64 v[44:45], v[8:9], v[36:37]
	v_add_f64 v[46:47], v[10:11], v[38:39]
	;; [unrolled: 1-line block ×7, first 2 shown]
	v_add_f64 v[6:7], v[46:47], -v[28:29]
	v_add_f64 v[8:9], v[42:43], v[20:21]
	v_add_f64 v[10:11], v[22:23], -v[40:41]
	v_add_f64 v[12:13], v[16:17], -v[34:35]
	v_add_f64 v[14:15], v[32:33], v[18:19]
	v_add_f64 v[16:17], v[34:35], v[16:17]
	v_add_f64 v[18:19], v[18:19], -v[32:33]
	v_add_f64 v[20:21], v[20:21], -v[42:43]
	v_add_f64 v[22:23], v[40:41], v[22:23]
	v_add_f64 v[24:25], v[44:45], -v[30:31]
	v_add_f64 v[26:27], v[28:29], v[46:47]
	ds_write_b128 v85, v[0:3]
	ds_write_b128 v85, v[4:7] offset:1008
	ds_write_b128 v85, v[8:11] offset:2016
	;; [unrolled: 1-line block ×6, first 2 shown]
	s_waitcnt lgkmcnt(0)
	s_barrier
	buffer_gl0_inv
	s_and_b32 exec_lo, exec_lo, vcc_lo
	s_cbranch_execz .LBB0_15
; %bb.14:
	v_add_co_u32 v24, s0, s14, v85
	v_add_co_ci_u32_e64 v25, null, s15, 0, s0
	v_mad_u64_u32 v[44:45], null, s6, v84, 0
	v_add_co_u32 v20, vcc_lo, 0x800, v24
	v_add_co_ci_u32_e32 v21, vcc_lo, 0, v25, vcc_lo
	v_add_co_u32 v28, vcc_lo, 0x1000, v24
	v_add_co_ci_u32_e32 v29, vcc_lo, 0, v25, vcc_lo
	v_add_co_u32 v32, vcc_lo, 0x1800, v24
	s_clause 0x5
	global_load_dwordx4 v[0:3], v85, s[14:15]
	global_load_dwordx4 v[4:7], v85, s[14:15] offset:784
	global_load_dwordx4 v[8:11], v85, s[14:15] offset:1568
	global_load_dwordx4 v[12:15], v[20:21], off offset:304
	global_load_dwordx4 v[16:19], v[20:21], off offset:1088
	;; [unrolled: 1-line block ×3, first 2 shown]
	v_add_co_ci_u32_e32 v33, vcc_lo, 0, v25, vcc_lo
	s_clause 0x2
	global_load_dwordx4 v[24:27], v[28:29], off offset:608
	global_load_dwordx4 v[28:31], v[28:29], off offset:1392
	;; [unrolled: 1-line block ×3, first 2 shown]
	v_mad_u64_u32 v[52:53], null, s4, v86, 0
	v_mov_b32_e32 v36, v45
	s_mul_i32 s2, s5, 0x310
	s_mul_hi_u32 s3, s4, 0x310
	s_mulk_i32 s4, 0x310
	s_add_i32 s3, s3, s2
	s_mov_b32 s0, 0x5bb804a5
	v_mov_b32_e32 v37, v53
	s_mov_b32 s1, 0x3f629372
	v_mad_u64_u32 v[38:39], null, s7, v84, v[36:37]
	v_mad_u64_u32 v[46:47], null, s5, v86, v[37:38]
	v_mov_b32_e32 v45, v38
	ds_read_b128 v[36:39], v85
	ds_read_b128 v[40:43], v85 offset:784
	v_lshlrev_b64 v[54:55], 4, v[44:45]
	v_mov_b32_e32 v53, v46
	ds_read_b128 v[44:47], v85 offset:1568
	ds_read_b128 v[48:51], v85 offset:2352
	v_lshlrev_b64 v[60:61], 4, v[52:53]
	v_add_co_u32 v62, vcc_lo, s12, v54
	v_add_co_ci_u32_e32 v63, vcc_lo, s13, v55, vcc_lo
	ds_read_b128 v[52:55], v85 offset:3136
	ds_read_b128 v[56:59], v85 offset:3920
	v_add_co_u32 v72, vcc_lo, v62, v60
	v_add_co_ci_u32_e32 v73, vcc_lo, v63, v61, vcc_lo
	ds_read_b128 v[60:63], v85 offset:4704
	ds_read_b128 v[64:67], v85 offset:5488
	;; [unrolled: 1-line block ×3, first 2 shown]
	v_add_co_u32 v74, vcc_lo, v72, s4
	v_add_co_ci_u32_e32 v75, vcc_lo, s3, v73, vcc_lo
	v_add_co_u32 v76, vcc_lo, v74, s4
	v_add_co_ci_u32_e32 v77, vcc_lo, s3, v75, vcc_lo
	;; [unrolled: 2-line block ×4, first 2 shown]
	s_waitcnt vmcnt(8) lgkmcnt(8)
	v_mul_f64 v[80:81], v[38:39], v[2:3]
	v_mul_f64 v[2:3], v[36:37], v[2:3]
	s_waitcnt vmcnt(7) lgkmcnt(7)
	v_mul_f64 v[82:83], v[42:43], v[6:7]
	v_mul_f64 v[6:7], v[40:41], v[6:7]
	;; [unrolled: 3-line block ×9, first 2 shown]
	v_fma_f64 v[36:37], v[36:37], v[0:1], v[80:81]
	v_fma_f64 v[2:3], v[0:1], v[38:39], -v[2:3]
	v_fma_f64 v[38:39], v[40:41], v[4:5], v[82:83]
	v_fma_f64 v[6:7], v[4:5], v[42:43], -v[6:7]
	;; [unrolled: 2-line block ×9, first 2 shown]
	v_add_co_u32 v54, vcc_lo, v98, s4
	v_add_co_ci_u32_e32 v55, vcc_lo, s3, v99, vcc_lo
	v_mul_f64 v[0:1], v[36:37], s[0:1]
	v_mul_f64 v[2:3], v[2:3], s[0:1]
	;; [unrolled: 1-line block ×18, first 2 shown]
	v_add_co_u32 v36, vcc_lo, v54, s4
	v_add_co_ci_u32_e32 v37, vcc_lo, s3, v55, vcc_lo
	v_add_co_u32 v38, vcc_lo, v36, s4
	v_add_co_ci_u32_e32 v39, vcc_lo, s3, v37, vcc_lo
	v_add_co_u32 v40, vcc_lo, v38, s4
	v_add_co_ci_u32_e32 v41, vcc_lo, s3, v39, vcc_lo
	global_store_dwordx4 v[72:73], v[0:3], off
	global_store_dwordx4 v[74:75], v[4:7], off
	;; [unrolled: 1-line block ×9, first 2 shown]
.LBB0_15:
	s_endpgm
	.section	.rodata,"a",@progbits
	.p2align	6, 0x0
	.amdhsa_kernel bluestein_single_fwd_len441_dim1_dp_op_CI_CI
		.amdhsa_group_segment_fixed_size 7056
		.amdhsa_private_segment_fixed_size 0
		.amdhsa_kernarg_size 104
		.amdhsa_user_sgpr_count 6
		.amdhsa_user_sgpr_private_segment_buffer 1
		.amdhsa_user_sgpr_dispatch_ptr 0
		.amdhsa_user_sgpr_queue_ptr 0
		.amdhsa_user_sgpr_kernarg_segment_ptr 1
		.amdhsa_user_sgpr_dispatch_id 0
		.amdhsa_user_sgpr_flat_scratch_init 0
		.amdhsa_user_sgpr_private_segment_size 0
		.amdhsa_wavefront_size32 1
		.amdhsa_uses_dynamic_stack 0
		.amdhsa_system_sgpr_private_segment_wavefront_offset 0
		.amdhsa_system_sgpr_workgroup_id_x 1
		.amdhsa_system_sgpr_workgroup_id_y 0
		.amdhsa_system_sgpr_workgroup_id_z 0
		.amdhsa_system_sgpr_workgroup_info 0
		.amdhsa_system_vgpr_workitem_id 0
		.amdhsa_next_free_vgpr 183
		.amdhsa_next_free_sgpr 30
		.amdhsa_reserve_vcc 1
		.amdhsa_reserve_flat_scratch 0
		.amdhsa_float_round_mode_32 0
		.amdhsa_float_round_mode_16_64 0
		.amdhsa_float_denorm_mode_32 3
		.amdhsa_float_denorm_mode_16_64 3
		.amdhsa_dx10_clamp 1
		.amdhsa_ieee_mode 1
		.amdhsa_fp16_overflow 0
		.amdhsa_workgroup_processor_mode 1
		.amdhsa_memory_ordered 1
		.amdhsa_forward_progress 0
		.amdhsa_shared_vgpr_count 0
		.amdhsa_exception_fp_ieee_invalid_op 0
		.amdhsa_exception_fp_denorm_src 0
		.amdhsa_exception_fp_ieee_div_zero 0
		.amdhsa_exception_fp_ieee_overflow 0
		.amdhsa_exception_fp_ieee_underflow 0
		.amdhsa_exception_fp_ieee_inexact 0
		.amdhsa_exception_int_div_zero 0
	.end_amdhsa_kernel
	.text
.Lfunc_end0:
	.size	bluestein_single_fwd_len441_dim1_dp_op_CI_CI, .Lfunc_end0-bluestein_single_fwd_len441_dim1_dp_op_CI_CI
                                        ; -- End function
	.section	.AMDGPU.csdata,"",@progbits
; Kernel info:
; codeLenInByte = 9580
; NumSgprs: 32
; NumVgprs: 183
; ScratchSize: 0
; MemoryBound: 0
; FloatMode: 240
; IeeeMode: 1
; LDSByteSize: 7056 bytes/workgroup (compile time only)
; SGPRBlocks: 3
; VGPRBlocks: 22
; NumSGPRsForWavesPerEU: 32
; NumVGPRsForWavesPerEU: 183
; Occupancy: 5
; WaveLimiterHint : 1
; COMPUTE_PGM_RSRC2:SCRATCH_EN: 0
; COMPUTE_PGM_RSRC2:USER_SGPR: 6
; COMPUTE_PGM_RSRC2:TRAP_HANDLER: 0
; COMPUTE_PGM_RSRC2:TGID_X_EN: 1
; COMPUTE_PGM_RSRC2:TGID_Y_EN: 0
; COMPUTE_PGM_RSRC2:TGID_Z_EN: 0
; COMPUTE_PGM_RSRC2:TIDIG_COMP_CNT: 0
	.text
	.p2alignl 6, 3214868480
	.fill 48, 4, 3214868480
	.type	__hip_cuid_d05e56be703a5c71,@object ; @__hip_cuid_d05e56be703a5c71
	.section	.bss,"aw",@nobits
	.globl	__hip_cuid_d05e56be703a5c71
__hip_cuid_d05e56be703a5c71:
	.byte	0                               ; 0x0
	.size	__hip_cuid_d05e56be703a5c71, 1

	.ident	"AMD clang version 19.0.0git (https://github.com/RadeonOpenCompute/llvm-project roc-6.4.0 25133 c7fe45cf4b819c5991fe208aaa96edf142730f1d)"
	.section	".note.GNU-stack","",@progbits
	.addrsig
	.addrsig_sym __hip_cuid_d05e56be703a5c71
	.amdgpu_metadata
---
amdhsa.kernels:
  - .args:
      - .actual_access:  read_only
        .address_space:  global
        .offset:         0
        .size:           8
        .value_kind:     global_buffer
      - .actual_access:  read_only
        .address_space:  global
        .offset:         8
        .size:           8
        .value_kind:     global_buffer
      - .actual_access:  read_only
        .address_space:  global
        .offset:         16
        .size:           8
        .value_kind:     global_buffer
      - .actual_access:  read_only
        .address_space:  global
        .offset:         24
        .size:           8
        .value_kind:     global_buffer
      - .actual_access:  read_only
        .address_space:  global
        .offset:         32
        .size:           8
        .value_kind:     global_buffer
      - .offset:         40
        .size:           8
        .value_kind:     by_value
      - .address_space:  global
        .offset:         48
        .size:           8
        .value_kind:     global_buffer
      - .address_space:  global
        .offset:         56
        .size:           8
        .value_kind:     global_buffer
      - .address_space:  global
        .offset:         64
        .size:           8
        .value_kind:     global_buffer
      - .address_space:  global
        .offset:         72
        .size:           8
        .value_kind:     global_buffer
      - .offset:         80
        .size:           4
        .value_kind:     by_value
      - .address_space:  global
        .offset:         88
        .size:           8
        .value_kind:     global_buffer
      - .address_space:  global
        .offset:         96
        .size:           8
        .value_kind:     global_buffer
    .group_segment_fixed_size: 7056
    .kernarg_segment_align: 8
    .kernarg_segment_size: 104
    .language:       OpenCL C
    .language_version:
      - 2
      - 0
    .max_flat_workgroup_size: 63
    .name:           bluestein_single_fwd_len441_dim1_dp_op_CI_CI
    .private_segment_fixed_size: 0
    .sgpr_count:     32
    .sgpr_spill_count: 0
    .symbol:         bluestein_single_fwd_len441_dim1_dp_op_CI_CI.kd
    .uniform_work_group_size: 1
    .uses_dynamic_stack: false
    .vgpr_count:     183
    .vgpr_spill_count: 0
    .wavefront_size: 32
    .workgroup_processor_mode: 1
amdhsa.target:   amdgcn-amd-amdhsa--gfx1030
amdhsa.version:
  - 1
  - 2
...

	.end_amdgpu_metadata
